;; amdgpu-corpus repo=ROCm/rocFFT kind=compiled arch=gfx1100 opt=O3
	.text
	.amdgcn_target "amdgcn-amd-amdhsa--gfx1100"
	.amdhsa_code_object_version 6
	.protected	fft_rtc_back_len243_factors_3_3_3_3_3_wgs_243_tpt_81_sp_op_CI_CI_sbcc_twdbase8_3step_dirReg ; -- Begin function fft_rtc_back_len243_factors_3_3_3_3_3_wgs_243_tpt_81_sp_op_CI_CI_sbcc_twdbase8_3step_dirReg
	.globl	fft_rtc_back_len243_factors_3_3_3_3_3_wgs_243_tpt_81_sp_op_CI_CI_sbcc_twdbase8_3step_dirReg
	.p2align	8
	.type	fft_rtc_back_len243_factors_3_3_3_3_3_wgs_243_tpt_81_sp_op_CI_CI_sbcc_twdbase8_3step_dirReg,@function
fft_rtc_back_len243_factors_3_3_3_3_3_wgs_243_tpt_81_sp_op_CI_CI_sbcc_twdbase8_3step_dirReg: ; @fft_rtc_back_len243_factors_3_3_3_3_3_wgs_243_tpt_81_sp_op_CI_CI_sbcc_twdbase8_3step_dirReg
; %bb.0:
	s_mov_b32 s30, s15
	s_clause 0x1
	s_load_b128 s[12:15], s[0:1], 0x18
	s_load_b64 s[28:29], s[0:1], 0x28
	s_mov_b32 s31, 0
	s_mov_b64 s[22:23], 0
	s_waitcnt lgkmcnt(0)
	s_load_b64 s[26:27], s[12:13], 0x8
	s_waitcnt lgkmcnt(0)
	s_add_u32 s2, s26, -1
	s_addc_u32 s3, s27, -1
	s_add_u32 s4, 0, 0x55500000
	s_addc_u32 s5, 0, 0x155
	s_mul_hi_u32 s7, s4, -3
	s_add_i32 s5, s5, 0x55555400
	s_sub_i32 s7, s7, s4
	s_mul_i32 s9, s5, -3
	s_mul_i32 s6, s4, -3
	s_add_i32 s7, s7, s9
	s_mul_hi_u32 s8, s4, s6
	s_mul_i32 s11, s4, s7
	s_mul_hi_u32 s9, s4, s7
	s_mul_hi_u32 s10, s5, s6
	s_mul_i32 s6, s5, s6
	s_add_u32 s8, s8, s11
	s_addc_u32 s9, 0, s9
	s_mul_hi_u32 s16, s5, s7
	s_add_u32 s6, s8, s6
	s_mul_i32 s7, s5, s7
	s_addc_u32 s6, s9, s10
	s_addc_u32 s8, s16, 0
	s_add_u32 s6, s6, s7
	s_delay_alu instid0(SALU_CYCLE_1) | instskip(SKIP_3) | instid1(VALU_DEP_1)
	v_add_co_u32 v1, s4, s4, s6
	s_addc_u32 s6, 0, s8
	s_cmp_lg_u32 s4, 0
	s_addc_u32 s4, s5, s6
	v_readfirstlane_b32 s5, v1
	s_mul_i32 s7, s2, s4
	s_mul_hi_u32 s6, s2, s4
	s_mul_hi_u32 s8, s3, s4
	s_mul_i32 s4, s3, s4
	s_mul_hi_u32 s9, s2, s5
	s_mul_hi_u32 s10, s3, s5
	s_mul_i32 s5, s3, s5
	s_add_u32 s7, s9, s7
	s_addc_u32 s6, 0, s6
	s_add_u32 s5, s7, s5
	s_addc_u32 s5, s6, s10
	s_addc_u32 s6, s8, 0
	s_add_u32 s4, s5, s4
	s_addc_u32 s5, 0, s6
	s_mul_i32 s7, s4, 3
	s_add_u32 s6, s4, 1
	v_sub_co_u32 v1, s2, s2, s7
	s_mul_hi_u32 s7, s4, 3
	s_addc_u32 s8, s5, 0
	s_mul_i32 s9, s5, 3
	s_delay_alu instid0(VALU_DEP_1)
	v_sub_co_u32 v2, s10, v1, 3
	s_add_u32 s11, s4, 2
	s_addc_u32 s16, s5, 0
	s_add_i32 s7, s7, s9
	s_cmp_lg_u32 s2, 0
	v_readfirstlane_b32 s2, v2
	s_subb_u32 s3, s3, s7
	s_cmp_lg_u32 s10, 0
	s_subb_u32 s7, s3, 0
	s_delay_alu instid0(VALU_DEP_1) | instskip(SKIP_4) | instid1(SALU_CYCLE_1)
	s_cmp_gt_u32 s2, 2
	s_cselect_b32 s2, -1, 0
	s_cmp_eq_u32 s7, 0
	v_readfirstlane_b32 s7, v1
	s_cselect_b32 s2, s2, -1
	s_cmp_lg_u32 s2, 0
	s_cselect_b32 s2, s11, s6
	s_cselect_b32 s6, s16, s8
	s_cmp_gt_u32 s7, 2
	s_cselect_b32 s7, -1, 0
	s_cmp_eq_u32 s3, 0
	s_cselect_b32 s3, s7, -1
	s_delay_alu instid0(SALU_CYCLE_1) | instskip(SKIP_4) | instid1(SALU_CYCLE_1)
	s_cmp_lg_u32 s3, 0
	s_cselect_b32 s2, s2, s4
	s_cselect_b32 s3, s6, s5
	s_add_u32 s36, s2, 1
	s_addc_u32 s37, s3, 0
	v_cmp_lt_u64_e64 s2, s[30:31], s[36:37]
	s_delay_alu instid0(VALU_DEP_1)
	s_and_b32 vcc_lo, exec_lo, s2
	s_cbranch_vccnz .LBB0_2
; %bb.1:
	v_cvt_f32_u32_e32 v1, s36
	s_sub_i32 s3, 0, s36
	s_mov_b32 s23, s31
	s_delay_alu instid0(VALU_DEP_1) | instskip(SKIP_2) | instid1(VALU_DEP_1)
	v_rcp_iflag_f32_e32 v1, v1
	s_waitcnt_depctr 0xfff
	v_mul_f32_e32 v1, 0x4f7ffffe, v1
	v_cvt_u32_f32_e32 v1, v1
	s_delay_alu instid0(VALU_DEP_1) | instskip(NEXT) | instid1(VALU_DEP_1)
	v_readfirstlane_b32 s2, v1
	s_mul_i32 s3, s3, s2
	s_delay_alu instid0(SALU_CYCLE_1) | instskip(NEXT) | instid1(SALU_CYCLE_1)
	s_mul_hi_u32 s3, s2, s3
	s_add_i32 s2, s2, s3
	s_delay_alu instid0(SALU_CYCLE_1) | instskip(NEXT) | instid1(SALU_CYCLE_1)
	s_mul_hi_u32 s2, s30, s2
	s_mul_i32 s3, s2, s36
	s_add_i32 s4, s2, 1
	s_sub_i32 s3, s30, s3
	s_delay_alu instid0(SALU_CYCLE_1)
	s_sub_i32 s5, s3, s36
	s_cmp_ge_u32 s3, s36
	s_cselect_b32 s2, s4, s2
	s_cselect_b32 s3, s5, s3
	s_add_i32 s4, s2, 1
	s_cmp_ge_u32 s3, s36
	s_cselect_b32 s22, s4, s2
.LBB0_2:
	s_load_b128 s[16:19], s[14:15], 0x0
	s_load_b128 s[4:7], s[28:29], 0x0
	s_clause 0x1
	s_load_b128 s[8:11], s[0:1], 0x8
	s_load_b64 s[24:25], s[0:1], 0x0
	s_mul_i32 s2, s22, s37
	s_mul_hi_u32 s3, s22, s36
	s_mul_i32 s20, s22, s36
	s_add_i32 s3, s3, s2
	s_sub_u32 s50, s30, s20
	s_subb_u32 s2, 0, s3
	s_mul_hi_u32 s33, s50, 3
	s_mul_i32 s20, s2, 3
	s_load_b128 s[0:3], s[0:1], 0x60
	s_add_i32 s33, s33, s20
	s_mul_i32 s50, s50, 3
	s_waitcnt lgkmcnt(0)
	s_mul_i32 s20, s18, s33
	s_mul_hi_u32 s21, s18, s50
	v_cmp_lt_u64_e64 s40, s[10:11], 3
	s_mul_i32 s35, s6, s33
	s_mul_hi_u32 s38, s6, s50
	s_mul_i32 s34, s19, s50
	s_mul_i32 s39, s7, s50
	s_add_i32 s20, s21, s20
	s_add_i32 s21, s38, s35
	;; [unrolled: 1-line block ×3, first 2 shown]
	s_mul_i32 s34, s18, s50
	s_add_i32 s21, s21, s39
	s_and_b32 vcc_lo, exec_lo, s40
	s_mul_i32 s20, s6, s50
	s_cbranch_vccnz .LBB0_12
; %bb.3:
	s_add_u32 s38, s28, 16
	s_addc_u32 s39, s29, 0
	s_add_u32 s40, s14, 16
	s_addc_u32 s41, s15, 0
	;; [unrolled: 2-line block ×3, first 2 shown]
	s_mov_b64 s[42:43], 2
	s_mov_b32 s44, 0
.LBB0_4:                                ; =>This Inner Loop Header: Depth=1
	s_load_b64 s[46:47], s[12:13], 0x0
	s_waitcnt lgkmcnt(0)
	s_or_b64 s[48:49], s[22:23], s[46:47]
	s_delay_alu instid0(SALU_CYCLE_1) | instskip(NEXT) | instid1(SALU_CYCLE_1)
	s_mov_b32 s45, s49
                                        ; implicit-def: $sgpr48_sgpr49
	s_cmp_lg_u64 s[44:45], 0
	s_mov_b32 s45, -1
	s_cbranch_scc0 .LBB0_6
; %bb.5:                                ;   in Loop: Header=BB0_4 Depth=1
	v_cvt_f32_u32_e32 v1, s46
	v_cvt_f32_u32_e32 v2, s47
	s_sub_u32 s49, 0, s46
	s_subb_u32 s51, 0, s47
	s_delay_alu instid0(VALU_DEP_1) | instskip(NEXT) | instid1(VALU_DEP_1)
	v_fmac_f32_e32 v1, 0x4f800000, v2
	v_rcp_f32_e32 v1, v1
	s_waitcnt_depctr 0xfff
	v_mul_f32_e32 v1, 0x5f7ffffc, v1
	s_delay_alu instid0(VALU_DEP_1) | instskip(NEXT) | instid1(VALU_DEP_1)
	v_mul_f32_e32 v2, 0x2f800000, v1
	v_trunc_f32_e32 v2, v2
	s_delay_alu instid0(VALU_DEP_1) | instskip(SKIP_1) | instid1(VALU_DEP_2)
	v_fmac_f32_e32 v1, 0xcf800000, v2
	v_cvt_u32_f32_e32 v2, v2
	v_cvt_u32_f32_e32 v1, v1
	s_delay_alu instid0(VALU_DEP_2) | instskip(NEXT) | instid1(VALU_DEP_2)
	v_readfirstlane_b32 s45, v2
	v_readfirstlane_b32 s48, v1
	s_delay_alu instid0(VALU_DEP_2) | instskip(NEXT) | instid1(VALU_DEP_1)
	s_mul_i32 s52, s49, s45
	s_mul_hi_u32 s54, s49, s48
	s_mul_i32 s53, s51, s48
	s_add_i32 s52, s54, s52
	s_mul_i32 s55, s49, s48
	s_add_i32 s52, s52, s53
	s_mul_hi_u32 s54, s48, s55
	s_mul_hi_u32 s56, s45, s55
	s_mul_i32 s53, s45, s55
	s_mul_hi_u32 s55, s48, s52
	s_mul_i32 s48, s48, s52
	s_mul_hi_u32 s57, s45, s52
	s_add_u32 s48, s54, s48
	s_addc_u32 s54, 0, s55
	s_add_u32 s48, s48, s53
	s_mul_i32 s52, s45, s52
	s_addc_u32 s48, s54, s56
	s_addc_u32 s53, s57, 0
	s_add_u32 s48, s48, s52
	s_addc_u32 s52, 0, s53
	v_add_co_u32 v1, s48, v1, s48
	s_delay_alu instid0(VALU_DEP_1) | instskip(SKIP_1) | instid1(VALU_DEP_1)
	s_cmp_lg_u32 s48, 0
	s_addc_u32 s45, s45, s52
	v_readfirstlane_b32 s48, v1
	s_mul_i32 s52, s49, s45
	s_delay_alu instid0(VALU_DEP_1)
	s_mul_hi_u32 s53, s49, s48
	s_mul_i32 s51, s51, s48
	s_add_i32 s52, s53, s52
	s_mul_i32 s49, s49, s48
	s_add_i32 s52, s52, s51
	s_mul_hi_u32 s53, s45, s49
	s_mul_i32 s54, s45, s49
	s_mul_hi_u32 s49, s48, s49
	s_mul_hi_u32 s55, s48, s52
	s_mul_i32 s48, s48, s52
	s_mul_hi_u32 s51, s45, s52
	s_add_u32 s48, s49, s48
	s_addc_u32 s49, 0, s55
	s_add_u32 s48, s48, s54
	s_mul_i32 s52, s45, s52
	s_addc_u32 s48, s49, s53
	s_addc_u32 s49, s51, 0
	s_add_u32 s48, s48, s52
	s_addc_u32 s49, 0, s49
	v_add_co_u32 v1, s48, v1, s48
	s_delay_alu instid0(VALU_DEP_1) | instskip(SKIP_1) | instid1(VALU_DEP_1)
	s_cmp_lg_u32 s48, 0
	s_addc_u32 s45, s45, s49
	v_readfirstlane_b32 s48, v1
	s_mul_i32 s51, s22, s45
	s_mul_hi_u32 s49, s22, s45
	s_mul_hi_u32 s52, s23, s45
	s_mul_i32 s45, s23, s45
	s_mul_hi_u32 s53, s22, s48
	s_mul_hi_u32 s54, s23, s48
	s_mul_i32 s48, s23, s48
	s_add_u32 s51, s53, s51
	s_addc_u32 s49, 0, s49
	s_add_u32 s48, s51, s48
	s_addc_u32 s48, s49, s54
	s_addc_u32 s49, s52, 0
	s_add_u32 s48, s48, s45
	s_addc_u32 s49, 0, s49
	s_mul_hi_u32 s45, s46, s48
	s_mul_i32 s52, s46, s49
	s_mul_i32 s53, s46, s48
	s_add_i32 s45, s45, s52
	v_sub_co_u32 v1, s52, s22, s53
	s_mul_i32 s51, s47, s48
	s_delay_alu instid0(SALU_CYCLE_1) | instskip(NEXT) | instid1(VALU_DEP_1)
	s_add_i32 s45, s45, s51
	v_sub_co_u32 v2, s53, v1, s46
	s_sub_i32 s51, s23, s45
	s_cmp_lg_u32 s52, 0
	s_subb_u32 s51, s51, s47
	s_cmp_lg_u32 s53, 0
	v_readfirstlane_b32 s53, v2
	s_subb_u32 s51, s51, 0
	s_delay_alu instid0(SALU_CYCLE_1) | instskip(SKIP_1) | instid1(VALU_DEP_1)
	s_cmp_ge_u32 s51, s47
	s_cselect_b32 s54, -1, 0
	s_cmp_ge_u32 s53, s46
	s_cselect_b32 s53, -1, 0
	s_cmp_eq_u32 s51, s47
	s_cselect_b32 s51, s53, s54
	s_add_u32 s53, s48, 1
	s_addc_u32 s54, s49, 0
	s_add_u32 s55, s48, 2
	s_addc_u32 s56, s49, 0
	s_cmp_lg_u32 s51, 0
	s_cselect_b32 s51, s55, s53
	s_cselect_b32 s53, s56, s54
	s_cmp_lg_u32 s52, 0
	v_readfirstlane_b32 s52, v1
	s_subb_u32 s45, s23, s45
	s_delay_alu instid0(SALU_CYCLE_1) | instskip(SKIP_1) | instid1(VALU_DEP_1)
	s_cmp_ge_u32 s45, s47
	s_cselect_b32 s54, -1, 0
	s_cmp_ge_u32 s52, s46
	s_cselect_b32 s52, -1, 0
	s_cmp_eq_u32 s45, s47
	s_cselect_b32 s45, s52, s54
	s_delay_alu instid0(SALU_CYCLE_1)
	s_cmp_lg_u32 s45, 0
	s_mov_b32 s45, 0
	s_cselect_b32 s49, s53, s49
	s_cselect_b32 s48, s51, s48
.LBB0_6:                                ;   in Loop: Header=BB0_4 Depth=1
	s_and_not1_b32 vcc_lo, exec_lo, s45
	s_cbranch_vccnz .LBB0_8
; %bb.7:                                ;   in Loop: Header=BB0_4 Depth=1
	v_cvt_f32_u32_e32 v1, s46
	s_sub_i32 s48, 0, s46
	s_waitcnt_depctr 0xfff
	v_rcp_iflag_f32_e32 v1, v1
	s_waitcnt_depctr 0xfff
	v_mul_f32_e32 v1, 0x4f7ffffe, v1
	s_delay_alu instid0(VALU_DEP_1) | instskip(NEXT) | instid1(VALU_DEP_1)
	v_cvt_u32_f32_e32 v1, v1
	v_readfirstlane_b32 s45, v1
	s_delay_alu instid0(VALU_DEP_1) | instskip(NEXT) | instid1(SALU_CYCLE_1)
	s_mul_i32 s48, s48, s45
	s_mul_hi_u32 s48, s45, s48
	s_delay_alu instid0(SALU_CYCLE_1) | instskip(NEXT) | instid1(SALU_CYCLE_1)
	s_add_i32 s45, s45, s48
	s_mul_hi_u32 s45, s22, s45
	s_delay_alu instid0(SALU_CYCLE_1) | instskip(SKIP_2) | instid1(SALU_CYCLE_1)
	s_mul_i32 s48, s45, s46
	s_add_i32 s49, s45, 1
	s_sub_i32 s48, s22, s48
	s_sub_i32 s51, s48, s46
	s_cmp_ge_u32 s48, s46
	s_cselect_b32 s45, s49, s45
	s_cselect_b32 s48, s51, s48
	s_add_i32 s49, s45, 1
	s_cmp_ge_u32 s48, s46
	s_cselect_b32 s48, s49, s45
	s_mov_b32 s49, s44
.LBB0_8:                                ;   in Loop: Header=BB0_4 Depth=1
	s_load_b64 s[52:53], s[40:41], 0x0
	s_load_b64 s[54:55], s[38:39], 0x0
	s_mul_i32 s37, s46, s37
	s_mul_hi_u32 s45, s46, s36
	s_mul_i32 s51, s47, s36
	s_mul_i32 s47, s48, s47
	s_mul_hi_u32 s56, s48, s46
	s_mul_i32 s57, s49, s46
	s_add_i32 s37, s45, s37
	s_add_i32 s45, s56, s47
	s_mul_i32 s58, s48, s46
	s_add_i32 s37, s37, s51
	s_add_i32 s45, s45, s57
	s_sub_u32 s22, s22, s58
	s_subb_u32 s23, s23, s45
	s_mul_i32 s36, s46, s36
	s_waitcnt lgkmcnt(0)
	s_mul_i32 s45, s52, s23
	s_mul_hi_u32 s47, s52, s22
	s_mul_i32 s51, s53, s22
	s_add_i32 s45, s47, s45
	s_mul_i32 s52, s52, s22
	s_mul_i32 s23, s54, s23
	s_mul_hi_u32 s47, s54, s22
	s_add_i32 s45, s45, s51
	s_add_u32 s34, s52, s34
	s_addc_u32 s35, s45, s35
	s_add_i32 s23, s47, s23
	s_mul_i32 s45, s55, s22
	s_mul_i32 s22, s54, s22
	s_add_i32 s23, s23, s45
	s_add_u32 s20, s22, s20
	s_addc_u32 s21, s23, s21
	s_add_u32 s42, s42, 1
	s_addc_u32 s43, s43, 0
	s_add_u32 s38, s38, 8
	v_cmp_ge_u64_e64 s22, s[42:43], s[10:11]
	s_addc_u32 s39, s39, 0
	s_add_u32 s40, s40, 8
	s_addc_u32 s41, s41, 0
	s_add_u32 s12, s12, 8
	s_addc_u32 s13, s13, 0
	s_and_b32 vcc_lo, exec_lo, s22
	s_cbranch_vccnz .LBB0_10
; %bb.9:                                ;   in Loop: Header=BB0_4 Depth=1
	s_mov_b64 s[22:23], s[48:49]
	s_branch .LBB0_4
.LBB0_10:
	v_cmp_lt_u64_e64 s12, s[30:31], s[36:37]
	s_mov_b64 s[22:23], 0
	s_delay_alu instid0(VALU_DEP_1)
	s_and_b32 vcc_lo, exec_lo, s12
	s_cbranch_vccnz .LBB0_12
; %bb.11:
	v_cvt_f32_u32_e32 v1, s36
	s_sub_i32 s13, 0, s36
	s_delay_alu instid0(VALU_DEP_1) | instskip(SKIP_2) | instid1(VALU_DEP_1)
	v_rcp_iflag_f32_e32 v1, v1
	s_waitcnt_depctr 0xfff
	v_mul_f32_e32 v1, 0x4f7ffffe, v1
	v_cvt_u32_f32_e32 v1, v1
	s_delay_alu instid0(VALU_DEP_1) | instskip(NEXT) | instid1(VALU_DEP_1)
	v_readfirstlane_b32 s12, v1
	s_mul_i32 s13, s13, s12
	s_delay_alu instid0(SALU_CYCLE_1) | instskip(NEXT) | instid1(SALU_CYCLE_1)
	s_mul_hi_u32 s13, s12, s13
	s_add_i32 s12, s12, s13
	s_delay_alu instid0(SALU_CYCLE_1) | instskip(NEXT) | instid1(SALU_CYCLE_1)
	s_mul_hi_u32 s12, s30, s12
	s_mul_i32 s13, s12, s36
	s_add_i32 s22, s12, 1
	s_sub_i32 s13, s30, s13
	s_delay_alu instid0(SALU_CYCLE_1)
	s_sub_i32 s23, s13, s36
	s_cmp_ge_u32 s13, s36
	s_cselect_b32 s12, s22, s12
	s_cselect_b32 s13, s23, s13
	s_add_i32 s22, s12, 1
	s_cmp_ge_u32 s13, s36
	s_cselect_b32 s22, s22, s12
.LBB0_12:
	v_mul_u32_u24_e32 v1, 0x5556, v0
	s_lshl_b64 s[12:13], s[10:11], 3
                                        ; implicit-def: $vgpr5
                                        ; implicit-def: $vgpr7
                                        ; implicit-def: $vgpr3
	s_delay_alu instid0(SALU_CYCLE_1) | instskip(SKIP_1) | instid1(VALU_DEP_1)
	s_add_u32 s10, s28, s12
	s_addc_u32 s11, s29, s13
	v_lshrrev_b32_e32 v9, 16, v1
	s_add_u32 s28, s50, 3
	s_addc_u32 s29, s33, 0
	s_delay_alu instid0(VALU_DEP_1) | instskip(NEXT) | instid1(VALU_DEP_1)
	v_mul_lo_u16 v1, v9, 3
	v_sub_nc_u16 v1, v0, v1
	s_delay_alu instid0(VALU_DEP_1) | instskip(NEXT) | instid1(VALU_DEP_1)
	v_and_b32_e32 v8, 0xffff, v1
	v_add_co_u32 v1, s23, s50, v8
	s_delay_alu instid0(VALU_DEP_1) | instskip(SKIP_1) | instid1(VALU_DEP_2)
	v_add_co_ci_u32_e64 v2, null, s33, 0, s23
	v_cmp_le_u64_e64 s23, s[28:29], s[26:27]
	v_cmp_gt_u64_e32 vcc_lo, s[26:27], v[1:2]
                                        ; kill: def $vgpr2 killed $sgpr0 killed $exec
	s_delay_alu instid0(VALU_DEP_2) | instskip(NEXT) | instid1(SALU_CYCLE_1)
	s_or_b32 s23, s23, vcc_lo
	s_and_saveexec_b32 s26, s23
	s_cbranch_execz .LBB0_14
; %bb.13:
	v_mad_u64_u32 v[2:3], null, s18, v8, 0
	v_mad_u64_u32 v[4:5], null, s16, v9, 0
	s_add_u32 s12, s14, s12
	v_add_nc_u32_e32 v15, 0x51, v9
	s_addc_u32 s13, s15, s13
	s_load_b64 s[12:13], s[12:13], 0x0
	s_delay_alu instid0(VALU_DEP_1) | instskip(NEXT) | instid1(VALU_DEP_3)
	v_mad_u64_u32 v[6:7], null, s16, v15, 0
	v_mad_u64_u32 v[12:13], null, s19, v8, v[3:4]
	v_add_nc_u32_e32 v16, 0xa2, v9
	s_delay_alu instid0(VALU_DEP_3) | instskip(NEXT) | instid1(VALU_DEP_3)
	v_mad_u64_u32 v[13:14], null, s17, v9, v[5:6]
	v_mov_b32_e32 v3, v12
	s_delay_alu instid0(VALU_DEP_3) | instskip(NEXT) | instid1(VALU_DEP_2)
	v_mad_u64_u32 v[10:11], null, s16, v16, 0
	v_lshlrev_b64 v[2:3], 3, v[2:3]
	s_delay_alu instid0(VALU_DEP_4) | instskip(SKIP_1) | instid1(VALU_DEP_4)
	v_mov_b32_e32 v5, v13
	v_mad_u64_u32 v[12:13], null, s17, v15, v[7:8]
	v_mov_b32_e32 v7, v11
	s_waitcnt lgkmcnt(0)
	s_mul_i32 s13, s13, s22
	s_mul_hi_u32 s14, s12, s22
	s_mul_i32 s12, s12, s22
	s_add_i32 s13, s14, s13
	v_mad_u64_u32 v[13:14], null, s17, v16, v[7:8]
	s_lshl_b64 s[12:13], s[12:13], 3
	v_mov_b32_e32 v7, v12
	s_add_u32 s12, s0, s12
	s_addc_u32 s13, s1, s13
	s_lshl_b64 s[0:1], s[34:35], 3
	v_lshlrev_b64 v[4:5], 3, v[4:5]
	s_add_u32 s0, s12, s0
	s_addc_u32 s1, s13, s1
	v_add_co_u32 v12, vcc_lo, s0, v2
	v_mov_b32_e32 v11, v13
	v_add_co_ci_u32_e32 v14, vcc_lo, s1, v3, vcc_lo
	v_lshlrev_b64 v[2:3], 3, v[6:7]
	s_delay_alu instid0(VALU_DEP_4) | instskip(NEXT) | instid1(VALU_DEP_4)
	v_add_co_u32 v4, vcc_lo, v12, v4
	v_lshlrev_b64 v[6:7], 3, v[10:11]
	s_delay_alu instid0(VALU_DEP_4) | instskip(NEXT) | instid1(VALU_DEP_4)
	v_add_co_ci_u32_e32 v5, vcc_lo, v14, v5, vcc_lo
	v_add_co_u32 v10, vcc_lo, v12, v2
	v_add_co_ci_u32_e32 v11, vcc_lo, v14, v3, vcc_lo
	s_delay_alu instid0(VALU_DEP_4)
	v_add_co_u32 v12, vcc_lo, v12, v6
	v_add_co_ci_u32_e32 v13, vcc_lo, v14, v7, vcc_lo
	s_clause 0x2
	global_load_b64 v[2:3], v[4:5], off
	global_load_b64 v[6:7], v[10:11], off
	;; [unrolled: 1-line block ×3, first 2 shown]
.LBB0_14:
	s_or_b32 exec_lo, exec_lo, s26
	v_mul_u32_u24_e32 v10, 0x5556, v9
	s_waitcnt vmcnt(1)
	v_dual_add_f32 v11, v6, v2 :: v_dual_add_f32 v14, v7, v3
	s_waitcnt vmcnt(0)
	v_dual_add_f32 v12, v4, v6 :: v_dual_sub_f32 v13, v7, v5
	v_lshrrev_b32_e32 v10, 16, v10
	v_dual_add_f32 v7, v5, v7 :: v_dual_lshlrev_b32 v16, 3, v8
	v_dual_sub_f32 v15, v6, v4 :: v_dual_add_f32 v4, v4, v11
	s_delay_alu instid0(VALU_DEP_3) | instskip(SKIP_3) | instid1(VALU_DEP_4)
	v_mul_lo_u16 v10, v10, 3
	v_mul_u32_u24_e32 v6, 0x48, v9
	v_dual_fmac_f32 v2, -0.5, v12 :: v_dual_add_f32 v5, v5, v14
	v_fmac_f32_e32 v3, -0.5, v7
	v_sub_nc_u16 v17, v9, v10
	s_delay_alu instid0(VALU_DEP_4) | instskip(NEXT) | instid1(VALU_DEP_4)
	v_add3_u32 v11, 0, v6, v16
	v_fmamk_f32 v6, v13, 0xbf5db3d7, v2
	s_delay_alu instid0(VALU_DEP_4) | instskip(NEXT) | instid1(VALU_DEP_4)
	v_dual_fmac_f32 v2, 0x3f5db3d7, v13 :: v_dual_fmamk_f32 v7, v15, 0x3f5db3d7, v3
	v_lshlrev_b16 v10, 1, v17
	s_load_b64 s[0:1], s[10:11], 0x0
	ds_store_2addr_b64 v11, v[4:5], v[6:7] offset1:3
	v_and_b32_e32 v10, 0xffff, v10
	s_delay_alu instid0(VALU_DEP_1)
	v_dual_fmac_f32 v3, 0xbf5db3d7, v15 :: v_dual_lshlrev_b32 v4, 3, v10
	ds_store_b64 v11, v[2:3] offset:48
	s_waitcnt lgkmcnt(0)
	s_barrier
	buffer_gl0_inv
	global_load_b128 v[4:7], v4, s[24:25]
	v_mul_u32_u24_e32 v10, 0x1c72, v9
	v_mad_i32_i24 v2, 0xffffffd0, v9, v11
	s_delay_alu instid0(VALU_DEP_2)
	v_lshrrev_b32_e32 v18, 16, v10
	ds_load_2addr_b64 v[10:13], v2 offset1:243
	ds_load_b64 v[14:15], v2 offset:3888
	v_and_b32_e32 v3, 0xffff, v0
	s_waitcnt vmcnt(0) lgkmcnt(0)
	s_barrier
	v_mul_lo_u16 v18, v18, 9
	buffer_gl0_inv
	v_sub_nc_u16 v18, v9, v18
	v_mul_f32_e32 v20, v5, v13
	v_mul_u32_u24_e32 v19, 0x1c72, v3
	s_delay_alu instid0(VALU_DEP_2) | instskip(NEXT) | instid1(VALU_DEP_2)
	v_dual_mul_f32 v21, v7, v15 :: v_dual_fmac_f32 v20, v4, v12
	v_lshrrev_b32_e32 v19, 16, v19
	s_delay_alu instid0(VALU_DEP_2) | instskip(SKIP_1) | instid1(VALU_DEP_3)
	v_fmac_f32_e32 v21, v6, v14
	v_mul_f32_e32 v7, v7, v14
	v_mad_u16 v17, v19, 9, v17
	v_lshlrev_b16 v19, 1, v18
	s_delay_alu instid0(VALU_DEP_3) | instskip(NEXT) | instid1(VALU_DEP_3)
	v_fma_f32 v7, v6, v15, -v7
	v_dual_add_f32 v6, v20, v10 :: v_dual_and_b32 v17, 0xffff, v17
	s_delay_alu instid0(VALU_DEP_3) | instskip(SKIP_1) | instid1(VALU_DEP_3)
	v_and_b32_e32 v19, 0xffff, v19
	v_mul_f32_e32 v5, v5, v12
	v_mul_u32_u24_e32 v17, 24, v17
	s_delay_alu instid0(VALU_DEP_3) | instskip(NEXT) | instid1(VALU_DEP_3)
	v_lshlrev_b32_e32 v12, 3, v19
	v_fma_f32 v4, v4, v13, -v5
	s_delay_alu instid0(VALU_DEP_3) | instskip(NEXT) | instid1(VALU_DEP_2)
	v_add3_u32 v13, 0, v17, v16
	v_add_f32_e32 v14, v4, v7
	v_sub_f32_e32 v15, v4, v7
	v_add_f32_e32 v5, v20, v21
	v_dual_add_f32 v17, v4, v11 :: v_dual_add_f32 v6, v6, v21
	s_delay_alu instid0(VALU_DEP_2) | instskip(SKIP_2) | instid1(VALU_DEP_4)
	v_fma_f32 v4, -0.5, v5, v10
	v_sub_f32_e32 v19, v20, v21
	v_fma_f32 v5, -0.5, v14, v11
	v_add_f32_e32 v7, v17, v7
	s_delay_alu instid0(VALU_DEP_2) | instskip(SKIP_2) | instid1(VALU_DEP_1)
	v_fmamk_f32 v11, v19, 0x3f5db3d7, v5
	v_fmac_f32_e32 v5, 0xbf5db3d7, v19
	v_mul_u32_u24_e32 v19, 0x97c, v3
	v_lshrrev_b32_e32 v19, 16, v19
	s_delay_alu instid0(VALU_DEP_1) | instskip(NEXT) | instid1(VALU_DEP_1)
	v_mad_u16 v18, v19, 27, v18
	v_and_b32_e32 v18, 0xffff, v18
	v_fmamk_f32 v10, v15, 0xbf5db3d7, v4
	v_fmac_f32_e32 v4, 0x3f5db3d7, v15
	ds_store_2addr_b64 v13, v[6:7], v[10:11] offset1:9
	ds_store_b64 v13, v[4:5] offset:144
	s_waitcnt lgkmcnt(0)
	s_barrier
	buffer_gl0_inv
	global_load_b128 v[4:7], v12, s[24:25] offset:48
	v_mul_u32_u24_e32 v10, 0x97c, v9
	v_mul_u32_u24_e32 v18, 24, v18
	s_delay_alu instid0(VALU_DEP_2)
	v_lshrrev_b32_e32 v17, 16, v10
	ds_load_2addr_b64 v[10:13], v2 offset1:243
	ds_load_b64 v[14:15], v2 offset:3888
	s_waitcnt vmcnt(0) lgkmcnt(0)
	s_barrier
	buffer_gl0_inv
	v_mul_lo_u16 v17, v17, 27
	s_delay_alu instid0(VALU_DEP_1) | instskip(NEXT) | instid1(VALU_DEP_1)
	v_sub_nc_u16 v17, v9, v17
	v_lshlrev_b16 v19, 1, v17
	v_mul_f32_e32 v21, v7, v15
	v_dual_mul_f32 v7, v7, v14 :: v_dual_mul_f32 v20, v5, v13
	s_delay_alu instid0(VALU_DEP_1) | instskip(SKIP_1) | instid1(VALU_DEP_3)
	v_fma_f32 v7, v6, v15, -v7
	v_mul_f32_e32 v5, v5, v12
	v_fmac_f32_e32 v20, v4, v12
	s_delay_alu instid0(VALU_DEP_2) | instskip(SKIP_1) | instid1(VALU_DEP_2)
	v_fma_f32 v4, v4, v13, -v5
	v_add3_u32 v13, 0, v18, v16
	v_sub_f32_e32 v15, v4, v7
	v_dual_fmac_f32 v21, v6, v14 :: v_dual_add_f32 v14, v4, v7
	v_add_f32_e32 v18, v4, v11
	v_add_f32_e32 v6, v20, v10
	s_delay_alu instid0(VALU_DEP_3) | instskip(NEXT) | instid1(VALU_DEP_3)
	v_add_f32_e32 v5, v20, v21
	v_add_f32_e32 v7, v18, v7
	v_mul_u32_u24_e32 v18, 0x32a, v3
	s_delay_alu instid0(VALU_DEP_3) | instskip(SKIP_1) | instid1(VALU_DEP_3)
	v_fma_f32 v4, -0.5, v5, v10
	v_fma_f32 v5, -0.5, v14, v11
	v_lshrrev_b32_e32 v18, 16, v18
	s_delay_alu instid0(VALU_DEP_3) | instskip(SKIP_2) | instid1(VALU_DEP_4)
	v_fmamk_f32 v10, v15, 0xbf5db3d7, v4
	v_dual_add_f32 v6, v6, v21 :: v_dual_and_b32 v19, 0xffff, v19
	v_fmac_f32_e32 v4, 0x3f5db3d7, v15
	v_mad_u16 v17, 0x51, v18, v17
	s_delay_alu instid0(VALU_DEP_3) | instskip(NEXT) | instid1(VALU_DEP_1)
	v_dual_sub_f32 v19, v20, v21 :: v_dual_lshlrev_b32 v12, 3, v19
	v_fmamk_f32 v11, v19, 0x3f5db3d7, v5
	v_fmac_f32_e32 v5, 0xbf5db3d7, v19
	ds_store_2addr_b64 v13, v[6:7], v[10:11] offset1:27
	ds_store_b64 v13, v[4:5] offset:432
	s_waitcnt lgkmcnt(0)
	s_barrier
	buffer_gl0_inv
	global_load_b128 v[4:7], v12, s[24:25] offset:192
	ds_load_2addr_b64 v[10:13], v2 offset1:243
	ds_load_b64 v[14:15], v2 offset:3888
	s_waitcnt vmcnt(0) lgkmcnt(0)
	s_barrier
	buffer_gl0_inv
	v_dual_mul_f32 v18, v5, v13 :: v_dual_mul_f32 v19, v7, v15
	s_delay_alu instid0(VALU_DEP_1) | instskip(NEXT) | instid1(VALU_DEP_2)
	v_dual_mul_f32 v7, v7, v14 :: v_dual_fmac_f32 v18, v4, v12
	v_fmac_f32_e32 v19, v6, v14
	s_delay_alu instid0(VALU_DEP_2) | instskip(NEXT) | instid1(VALU_DEP_3)
	v_fma_f32 v7, v6, v15, -v7
	v_dual_add_f32 v6, v18, v10 :: v_dual_and_b32 v17, 0xffff, v17
	v_mul_f32_e32 v5, v5, v12
	s_delay_alu instid0(VALU_DEP_2) | instskip(NEXT) | instid1(VALU_DEP_3)
	v_mul_u32_u24_e32 v17, 24, v17
	v_add_f32_e32 v6, v6, v19
	s_delay_alu instid0(VALU_DEP_3) | instskip(SKIP_1) | instid1(VALU_DEP_4)
	v_fma_f32 v4, v4, v13, -v5
	v_add_f32_e32 v5, v18, v19
	v_add3_u32 v12, 0, v17, v16
	v_sub_f32_e32 v16, v18, v19
	s_delay_alu instid0(VALU_DEP_4) | instskip(SKIP_3) | instid1(VALU_DEP_4)
	v_add_f32_e32 v13, v4, v7
	v_sub_f32_e32 v14, v4, v7
	v_add_f32_e32 v15, v4, v11
	v_fma_f32 v4, -0.5, v5, v10
	v_fma_f32 v5, -0.5, v13, v11
	s_delay_alu instid0(VALU_DEP_2) | instskip(NEXT) | instid1(VALU_DEP_2)
	v_dual_add_f32 v7, v15, v7 :: v_dual_fmamk_f32 v10, v14, 0xbf5db3d7, v4
	v_dual_fmac_f32 v4, 0x3f5db3d7, v14 :: v_dual_fmamk_f32 v11, v16, 0x3f5db3d7, v5
	v_fmac_f32_e32 v5, 0xbf5db3d7, v16
	ds_store_2addr_b64 v12, v[6:7], v[10:11] offset1:81
	ds_store_b64 v12, v[4:5] offset:1296
	s_waitcnt lgkmcnt(0)
	s_barrier
	buffer_gl0_inv
	s_and_saveexec_b32 s10, s23
	s_cbranch_execz .LBB0_16
; %bb.15:
	v_mul_u32_u24_e32 v4, 0x32a, v9
	s_movk_i32 s10, 0x7f8
	s_mul_i32 s1, s1, s22
	s_delay_alu instid0(VALU_DEP_1) | instskip(NEXT) | instid1(VALU_DEP_1)
	v_lshrrev_b32_e32 v4, 16, v4
	v_mul_lo_u16 v4, 0x51, v4
	s_delay_alu instid0(VALU_DEP_1) | instskip(NEXT) | instid1(VALU_DEP_1)
	v_sub_nc_u16 v4, v9, v4
	v_and_b32_e32 v31, 0xffff, v4
	s_delay_alu instid0(VALU_DEP_1)
	v_lshlrev_b32_e32 v4, 4, v31
	v_add_nc_u32_e32 v9, 0xa2, v31
	v_mul_lo_u32 v11, v1, v31
	global_load_b128 v[4:7], v4, s[24:25] offset:624
	v_add_nc_u32_e32 v10, 0x51, v31
	v_mul_lo_u32 v9, v1, v9
	v_lshrrev_b32_e32 v12, 5, v11
	s_delay_alu instid0(VALU_DEP_3) | instskip(SKIP_1) | instid1(VALU_DEP_4)
	v_mul_lo_u32 v1, v1, v10
	v_and_b32_e32 v10, 0xff, v11
	v_and_b32_e32 v13, 0xff, v9
	v_lshrrev_b32_e32 v14, 5, v9
	v_and_b32_e32 v12, 0x7f8, v12
	s_delay_alu instid0(VALU_DEP_4)
	v_lshlrev_b32_e32 v10, 3, v10
	v_and_b32_e32 v15, 0xff, v1
	v_lshrrev_b32_e32 v16, 5, v1
	v_lshlrev_b32_e32 v13, 3, v13
	v_and_b32_e32 v17, 0x7f8, v14
	v_lshrrev_b32_e32 v9, 13, v9
	v_lshlrev_b32_e32 v18, 3, v15
	v_and_b32_e32 v19, 0x7f8, v16
	s_clause 0x5
	global_load_b64 v[13:14], v13, s[8:9]
	global_load_b64 v[15:16], v17, s[8:9] offset:2048
	global_load_b64 v[17:18], v18, s[8:9]
	global_load_b64 v[19:20], v19, s[8:9] offset:2048
	global_load_b64 v[21:22], v12, s[8:9] offset:2048
	global_load_b64 v[23:24], v10, s[8:9]
	v_lshrrev_b32_e32 v1, 13, v1
	v_lshrrev_b32_e32 v10, 13, v11
	v_and_or_b32 v9, v9, s10, 0x1000
	s_delay_alu instid0(VALU_DEP_3) | instskip(NEXT) | instid1(VALU_DEP_3)
	v_and_or_b32 v1, v1, s10, 0x1000
	v_and_or_b32 v10, v10, s10, 0x1000
	s_clause 0x2
	global_load_b64 v[25:26], v9, s[8:9]
	global_load_b64 v[27:28], v1, s[8:9]
	;; [unrolled: 1-line block ×3, first 2 shown]
	v_mul_u32_u24_e32 v1, 0x10e, v3
	s_mul_hi_u32 s8, s0, s22
	s_mul_i32 s0, s0, s22
	s_add_i32 s1, s8, s1
	s_delay_alu instid0(VALU_DEP_1) | instskip(SKIP_1) | instid1(SALU_CYCLE_1)
	v_lshrrev_b32_e32 v1, 16, v1
	s_lshl_b64 s[0:1], s[0:1], 3
	s_add_u32 s2, s2, s0
	s_addc_u32 s3, s3, s1
	s_delay_alu instid0(VALU_DEP_1) | instskip(SKIP_1) | instid1(SALU_CYCLE_1)
	v_mul_lo_u16 v1, 0xf3, v1
	s_lshl_b64 s[0:1], s[20:21], 3
	s_add_u32 s0, s2, s0
	s_addc_u32 s1, s3, s1
	s_delay_alu instid0(VALU_DEP_1) | instskip(NEXT) | instid1(VALU_DEP_1)
	v_sub_nc_u16 v1, v0, v1
	v_and_b32_e32 v1, 0xffff, v1
	s_delay_alu instid0(VALU_DEP_1) | instskip(SKIP_4) | instid1(VALU_DEP_1)
	v_sub_nc_u32_e32 v32, v0, v1
	ds_load_2addr_b64 v[9:12], v2 offset1:243
	ds_load_b64 v[0:1], v2 offset:3888
	v_mad_u64_u32 v[2:3], null, s6, v8, 0
	v_add_nc_u32_e32 v40, v32, v31
	v_add_nc_u32_e32 v41, 0x51, v40
	;; [unrolled: 1-line block ×3, first 2 shown]
	v_mad_u64_u32 v[31:32], null, s4, v40, 0
	s_delay_alu instid0(VALU_DEP_3) | instskip(NEXT) | instid1(VALU_DEP_3)
	v_mad_u64_u32 v[33:34], null, s4, v41, 0
	v_mad_u64_u32 v[35:36], null, s4, v42, 0
	s_waitcnt vmcnt(9)
	v_mad_u64_u32 v[37:38], null, s7, v8, v[3:4]
	s_delay_alu instid0(VALU_DEP_3) | instskip(NEXT) | instid1(VALU_DEP_4)
	v_mad_u64_u32 v[38:39], null, s5, v40, v[32:33]
	v_mov_b32_e32 v8, v34
	s_delay_alu instid0(VALU_DEP_3) | instskip(SKIP_1) | instid1(VALU_DEP_2)
	v_dual_mov_b32 v32, v36 :: v_dual_mov_b32 v3, v37
	s_waitcnt lgkmcnt(1)
	v_mad_u64_u32 v[36:37], null, s5, v41, v[8:9]
	s_delay_alu instid0(VALU_DEP_2) | instskip(NEXT) | instid1(VALU_DEP_3)
	v_mad_u64_u32 v[39:40], null, s5, v42, v[32:33]
	v_lshlrev_b64 v[2:3], 3, v[2:3]
	v_mov_b32_e32 v32, v38
	s_delay_alu instid0(VALU_DEP_4) | instskip(NEXT) | instid1(VALU_DEP_4)
	v_mov_b32_e32 v34, v36
	v_mov_b32_e32 v36, v39
	s_delay_alu instid0(VALU_DEP_3)
	v_lshlrev_b64 v[31:32], 3, v[31:32]
	v_add_co_u32 v8, vcc_lo, s0, v2
	v_add_co_ci_u32_e32 v37, vcc_lo, s1, v3, vcc_lo
	v_lshlrev_b64 v[2:3], 3, v[33:34]
	v_lshlrev_b64 v[33:34], 3, v[35:36]
	s_waitcnt lgkmcnt(0)
	v_dual_mul_f32 v35, v5, v11 :: v_dual_mul_f32 v36, v7, v0
	v_mul_f32_e32 v5, v5, v12
	v_mul_f32_e32 v7, v7, v1
	v_add_co_u32 v31, vcc_lo, v8, v31
	s_delay_alu instid0(VALU_DEP_4)
	v_fma_f32 v12, v4, v12, -v35
	v_fma_f32 v35, v6, v1, -v36
	v_fmac_f32_e32 v5, v4, v11
	v_fmac_f32_e32 v7, v6, v0
	v_add_co_ci_u32_e32 v32, vcc_lo, v37, v32, vcc_lo
	v_add_f32_e32 v11, v12, v10
	v_add_co_u32 v2, vcc_lo, v8, v2
	v_add_co_ci_u32_e32 v3, vcc_lo, v37, v3, vcc_lo
	v_add_co_u32 v0, vcc_lo, v8, v33
	v_add_f32_e32 v4, v12, v35
	v_sub_f32_e32 v6, v5, v7
	v_add_f32_e32 v8, v5, v7
	v_add_f32_e32 v5, v5, v9
	v_add_co_ci_u32_e32 v1, vcc_lo, v37, v34, vcc_lo
	v_sub_f32_e32 v12, v12, v35
	v_fma_f32 v10, -0.5, v4, v10
	v_fma_f32 v33, -0.5, v8, v9
	s_waitcnt vmcnt(7)
	v_dual_add_f32 v11, v11, v35 :: v_dual_mul_f32 v4, v14, v16
	s_waitcnt vmcnt(5)
	v_dual_add_f32 v34, v5, v7 :: v_dual_mul_f32 v7, v18, v20
	v_mul_f32_e32 v5, v13, v16
	s_waitcnt vmcnt(3)
	v_dual_mul_f32 v8, v17, v20 :: v_dual_mul_f32 v9, v24, v22
	v_mul_f32_e32 v16, v23, v22
	v_fma_f32 v4, v13, v15, -v4
	v_fmac_f32_e32 v5, v14, v15
	v_fmamk_f32 v20, v6, 0xbf5db3d7, v10
	v_fmac_f32_e32 v8, v18, v19
	v_fmac_f32_e32 v10, 0x3f5db3d7, v6
	v_fma_f32 v6, v17, v19, -v7
	v_fma_f32 v7, v23, v21, -v9
	v_fmamk_f32 v22, v12, 0x3f5db3d7, v33
	v_dual_fmac_f32 v33, 0xbf5db3d7, v12 :: v_dual_fmac_f32 v16, v24, v21
	s_waitcnt vmcnt(0)
	s_delay_alu instid0(VALU_DEP_3)
	v_dual_mul_f32 v14, v6, v28 :: v_dual_mul_f32 v17, v7, v30
	v_mul_f32_e32 v12, v4, v26
	v_mul_f32_e32 v9, v5, v26
	;; [unrolled: 1-line block ×4, first 2 shown]
	v_fmac_f32_e32 v17, v29, v16
	v_fmac_f32_e32 v12, v25, v5
	v_fmac_f32_e32 v14, v27, v8
	v_fma_f32 v18, v25, v4, -v9
	v_fma_f32 v13, v27, v6, -v13
	;; [unrolled: 1-line block ×3, first 2 shown]
	v_dual_mul_f32 v5, v22, v12 :: v_dual_mul_f32 v6, v11, v17
	v_dual_mul_f32 v4, v20, v12 :: v_dual_mul_f32 v7, v33, v14
	v_mul_f32_e32 v12, v34, v17
	v_mul_f32_e32 v8, v10, v14
	s_delay_alu instid0(VALU_DEP_4)
	v_fmac_f32_e32 v6, v34, v15
	v_fma_f32 v5, v20, v18, -v5
	v_fma_f32 v9, v10, v13, -v7
	;; [unrolled: 1-line block ×3, first 2 shown]
	v_fmac_f32_e32 v8, v33, v13
	v_fmac_f32_e32 v4, v22, v18
	s_clause 0x2
	global_store_b64 v[31:32], v[6:7], off
	global_store_b64 v[2:3], v[8:9], off
	;; [unrolled: 1-line block ×3, first 2 shown]
.LBB0_16:
	s_nop 0
	s_sendmsg sendmsg(MSG_DEALLOC_VGPRS)
	s_endpgm
	.section	.rodata,"a",@progbits
	.p2align	6, 0x0
	.amdhsa_kernel fft_rtc_back_len243_factors_3_3_3_3_3_wgs_243_tpt_81_sp_op_CI_CI_sbcc_twdbase8_3step_dirReg
		.amdhsa_group_segment_fixed_size 0
		.amdhsa_private_segment_fixed_size 0
		.amdhsa_kernarg_size 112
		.amdhsa_user_sgpr_count 15
		.amdhsa_user_sgpr_dispatch_ptr 0
		.amdhsa_user_sgpr_queue_ptr 0
		.amdhsa_user_sgpr_kernarg_segment_ptr 1
		.amdhsa_user_sgpr_dispatch_id 0
		.amdhsa_user_sgpr_private_segment_size 0
		.amdhsa_wavefront_size32 1
		.amdhsa_uses_dynamic_stack 0
		.amdhsa_enable_private_segment 0
		.amdhsa_system_sgpr_workgroup_id_x 1
		.amdhsa_system_sgpr_workgroup_id_y 0
		.amdhsa_system_sgpr_workgroup_id_z 0
		.amdhsa_system_sgpr_workgroup_info 0
		.amdhsa_system_vgpr_workitem_id 0
		.amdhsa_next_free_vgpr 43
		.amdhsa_next_free_sgpr 59
		.amdhsa_reserve_vcc 1
		.amdhsa_float_round_mode_32 0
		.amdhsa_float_round_mode_16_64 0
		.amdhsa_float_denorm_mode_32 3
		.amdhsa_float_denorm_mode_16_64 3
		.amdhsa_dx10_clamp 1
		.amdhsa_ieee_mode 1
		.amdhsa_fp16_overflow 0
		.amdhsa_workgroup_processor_mode 1
		.amdhsa_memory_ordered 1
		.amdhsa_forward_progress 0
		.amdhsa_shared_vgpr_count 0
		.amdhsa_exception_fp_ieee_invalid_op 0
		.amdhsa_exception_fp_denorm_src 0
		.amdhsa_exception_fp_ieee_div_zero 0
		.amdhsa_exception_fp_ieee_overflow 0
		.amdhsa_exception_fp_ieee_underflow 0
		.amdhsa_exception_fp_ieee_inexact 0
		.amdhsa_exception_int_div_zero 0
	.end_amdhsa_kernel
	.text
.Lfunc_end0:
	.size	fft_rtc_back_len243_factors_3_3_3_3_3_wgs_243_tpt_81_sp_op_CI_CI_sbcc_twdbase8_3step_dirReg, .Lfunc_end0-fft_rtc_back_len243_factors_3_3_3_3_3_wgs_243_tpt_81_sp_op_CI_CI_sbcc_twdbase8_3step_dirReg
                                        ; -- End function
	.section	.AMDGPU.csdata,"",@progbits
; Kernel info:
; codeLenInByte = 4292
; NumSgprs: 61
; NumVgprs: 43
; ScratchSize: 0
; MemoryBound: 0
; FloatMode: 240
; IeeeMode: 1
; LDSByteSize: 0 bytes/workgroup (compile time only)
; SGPRBlocks: 7
; VGPRBlocks: 5
; NumSGPRsForWavesPerEU: 61
; NumVGPRsForWavesPerEU: 43
; Occupancy: 16
; WaveLimiterHint : 1
; COMPUTE_PGM_RSRC2:SCRATCH_EN: 0
; COMPUTE_PGM_RSRC2:USER_SGPR: 15
; COMPUTE_PGM_RSRC2:TRAP_HANDLER: 0
; COMPUTE_PGM_RSRC2:TGID_X_EN: 1
; COMPUTE_PGM_RSRC2:TGID_Y_EN: 0
; COMPUTE_PGM_RSRC2:TGID_Z_EN: 0
; COMPUTE_PGM_RSRC2:TIDIG_COMP_CNT: 0
	.text
	.p2alignl 7, 3214868480
	.fill 96, 4, 3214868480
	.type	__hip_cuid_6e05ae17d28bd6a5,@object ; @__hip_cuid_6e05ae17d28bd6a5
	.section	.bss,"aw",@nobits
	.globl	__hip_cuid_6e05ae17d28bd6a5
__hip_cuid_6e05ae17d28bd6a5:
	.byte	0                               ; 0x0
	.size	__hip_cuid_6e05ae17d28bd6a5, 1

	.ident	"AMD clang version 19.0.0git (https://github.com/RadeonOpenCompute/llvm-project roc-6.4.0 25133 c7fe45cf4b819c5991fe208aaa96edf142730f1d)"
	.section	".note.GNU-stack","",@progbits
	.addrsig
	.addrsig_sym __hip_cuid_6e05ae17d28bd6a5
	.amdgpu_metadata
---
amdhsa.kernels:
  - .args:
      - .actual_access:  read_only
        .address_space:  global
        .offset:         0
        .size:           8
        .value_kind:     global_buffer
      - .address_space:  global
        .offset:         8
        .size:           8
        .value_kind:     global_buffer
      - .offset:         16
        .size:           8
        .value_kind:     by_value
      - .actual_access:  read_only
        .address_space:  global
        .offset:         24
        .size:           8
        .value_kind:     global_buffer
      - .actual_access:  read_only
        .address_space:  global
        .offset:         32
        .size:           8
        .value_kind:     global_buffer
      - .actual_access:  read_only
        .address_space:  global
        .offset:         40
        .size:           8
        .value_kind:     global_buffer
      - .offset:         48
        .size:           8
        .value_kind:     by_value
      - .actual_access:  read_only
        .address_space:  global
        .offset:         56
        .size:           8
        .value_kind:     global_buffer
      - .actual_access:  read_only
        .address_space:  global
        .offset:         64
        .size:           8
        .value_kind:     global_buffer
      - .offset:         72
        .size:           4
        .value_kind:     by_value
      - .actual_access:  read_only
        .address_space:  global
        .offset:         80
        .size:           8
        .value_kind:     global_buffer
      - .actual_access:  read_only
        .address_space:  global
        .offset:         88
        .size:           8
        .value_kind:     global_buffer
      - .actual_access:  read_only
        .address_space:  global
        .offset:         96
        .size:           8
        .value_kind:     global_buffer
      - .actual_access:  write_only
        .address_space:  global
        .offset:         104
        .size:           8
        .value_kind:     global_buffer
    .group_segment_fixed_size: 0
    .kernarg_segment_align: 8
    .kernarg_segment_size: 112
    .language:       OpenCL C
    .language_version:
      - 2
      - 0
    .max_flat_workgroup_size: 243
    .name:           fft_rtc_back_len243_factors_3_3_3_3_3_wgs_243_tpt_81_sp_op_CI_CI_sbcc_twdbase8_3step_dirReg
    .private_segment_fixed_size: 0
    .sgpr_count:     61
    .sgpr_spill_count: 0
    .symbol:         fft_rtc_back_len243_factors_3_3_3_3_3_wgs_243_tpt_81_sp_op_CI_CI_sbcc_twdbase8_3step_dirReg.kd
    .uniform_work_group_size: 1
    .uses_dynamic_stack: false
    .vgpr_count:     43
    .vgpr_spill_count: 0
    .wavefront_size: 32
    .workgroup_processor_mode: 1
amdhsa.target:   amdgcn-amd-amdhsa--gfx1100
amdhsa.version:
  - 1
  - 2
...

	.end_amdgpu_metadata
